;; amdgpu-corpus repo=ROCm/rocFFT kind=compiled arch=gfx950 opt=O3
	.text
	.amdgcn_target "amdgcn-amd-amdhsa--gfx950"
	.amdhsa_code_object_version 6
	.protected	bluestein_single_back_len55_dim1_sp_op_CI_CI ; -- Begin function bluestein_single_back_len55_dim1_sp_op_CI_CI
	.globl	bluestein_single_back_len55_dim1_sp_op_CI_CI
	.p2align	8
	.type	bluestein_single_back_len55_dim1_sp_op_CI_CI,@function
bluestein_single_back_len55_dim1_sp_op_CI_CI: ; @bluestein_single_back_len55_dim1_sp_op_CI_CI
; %bb.0:
	s_load_dwordx4 s[16:19], s[0:1], 0x28
	v_mul_u32_u24_e32 v1, 0x1746, v0
	v_lshrrev_b32_e32 v2, 16, v1
	v_mad_u64_u32 v[42:43], s[2:3], s2, 23, v[2:3]
	v_mov_b32_e32 v41, 0
	v_mov_b32_e32 v43, v41
	s_waitcnt lgkmcnt(0)
	v_cmp_gt_u64_e32 vcc, s[16:17], v[42:43]
	s_and_saveexec_b64 s[2:3], vcc
	s_cbranch_execz .LBB0_10
; %bb.1:
	s_load_dwordx4 s[8:11], s[0:1], 0x18
	s_load_dwordx4 s[4:7], s[0:1], 0x0
	v_mul_lo_u16_e32 v1, 11, v2
	v_sub_u16_e32 v43, v0, v1
	v_mov_b32_e32 v4, s18
	s_waitcnt lgkmcnt(0)
	s_load_dwordx4 s[12:15], s[8:9], 0x0
	v_mov_b32_e32 v5, s19
	v_mov_b32_e32 v10, 0x58
	v_lshlrev_b32_e32 v40, 3, v43
	global_load_dwordx2 v[52:53], v40, s[4:5]
	s_waitcnt lgkmcnt(0)
	v_mad_u64_u32 v[0:1], s[2:3], s14, v42, 0
	v_mov_b32_e32 v2, v1
	v_mad_u64_u32 v[2:3], s[2:3], s15, v42, v[2:3]
	v_mov_b32_e32 v1, v2
	;; [unrolled: 2-line block ×4, first 2 shown]
	v_lshl_add_u64 v[0:1], v[0:1], 3, v[4:5]
	v_lshl_add_u64 v[0:1], v[2:3], 3, v[0:1]
	global_load_dwordx2 v[2:3], v[0:1], off
	v_mad_u64_u32 v[0:1], s[2:3], s12, v10, v[0:1]
	s_mul_i32 s8, s13, 0x58
	v_add_u32_e32 v1, s8, v1
	global_load_dwordx2 v[4:5], v[0:1], off
	global_load_dwordx2 v[50:51], v40, s[4:5] offset:88
	v_mad_u64_u32 v[0:1], s[2:3], s12, v10, v[0:1]
	v_add_u32_e32 v1, s8, v1
	global_load_dwordx2 v[6:7], v[0:1], off
	global_load_dwordx2 v[48:49], v40, s[4:5] offset:176
	v_mad_u64_u32 v[0:1], s[2:3], s12, v10, v[0:1]
	v_add_u32_e32 v1, s8, v1
	global_load_dwordx2 v[46:47], v40, s[4:5] offset:264
	global_load_dwordx2 v[8:9], v[0:1], off
	v_mad_u64_u32 v[0:1], s[2:3], s12, v10, v[0:1]
	v_add_u32_e32 v1, s8, v1
	global_load_dwordx2 v[44:45], v40, s[4:5] offset:352
	global_load_dwordx2 v[10:11], v[0:1], off
	s_load_dwordx2 s[8:9], s[0:1], 0x38
	s_mov_b32 s0, 0xb21642c9
	v_mul_hi_u32 v0, v42, s0
	v_lshrrev_b32_e32 v0, 4, v0
	v_mul_lo_u32 v0, v0, 23
	v_sub_u32_e32 v0, v42, v0
	v_mul_u32_u24_e32 v0, 55, v0
	v_lshlrev_b32_e32 v151, 3, v0
	v_add_u32_e32 v150, v40, v151
	s_load_dwordx4 s[0:3], s[10:11], 0x0
	s_mov_b32 s12, 0x3f737871
	s_mov_b32 s10, 0x3f167918
	;; [unrolled: 1-line block ×3, first 2 shown]
	v_cmp_gt_u16_e32 vcc, 5, v43
                                        ; implicit-def: $vgpr32
                                        ; implicit-def: $vgpr56
                                        ; implicit-def: $vgpr58
                                        ; implicit-def: $vgpr36
                                        ; implicit-def: $vgpr60
                                        ; implicit-def: $vgpr62
                                        ; implicit-def: $vgpr54
                                        ; implicit-def: $vgpr64
                                        ; implicit-def: $vgpr66
	s_waitcnt vmcnt(8)
	v_mul_f32_e32 v0, v3, v53
	v_mul_f32_e32 v1, v2, v53
	v_fmac_f32_e32 v0, v2, v52
	v_fma_f32 v1, v3, v52, -v1
	s_waitcnt vmcnt(6)
	v_mul_f32_e32 v2, v5, v51
	v_mul_f32_e32 v3, v4, v51
	v_fmac_f32_e32 v2, v4, v50
	v_fma_f32 v3, v5, v50, -v3
	ds_write2_b64 v150, v[0:1], v[2:3] offset1:11
	s_waitcnt vmcnt(4)
	v_mul_f32_e32 v0, v7, v49
	v_mul_f32_e32 v1, v6, v49
	v_fmac_f32_e32 v0, v6, v48
	s_waitcnt vmcnt(2)
	v_mul_f32_e32 v2, v9, v47
	v_mul_f32_e32 v3, v8, v47
	v_fma_f32 v1, v7, v48, -v1
	v_fmac_f32_e32 v2, v8, v46
	v_fma_f32 v3, v9, v46, -v3
	ds_write2_b64 v150, v[0:1], v[2:3] offset0:22 offset1:33
	s_waitcnt vmcnt(0)
	v_mul_f32_e32 v0, v11, v45
	v_mul_f32_e32 v1, v10, v45
	v_fmac_f32_e32 v0, v10, v44
	v_fma_f32 v1, v11, v44, -v1
	ds_write_b64 v150, v[0:1] offset:352
	s_waitcnt lgkmcnt(0)
	s_barrier
	ds_read2_b64 v[0:3], v150 offset1:11
	ds_read2_b64 v[4:7], v150 offset0:22 offset1:33
	ds_read_b64 v[8:9], v150 offset:352
	s_waitcnt lgkmcnt(0)
	s_barrier
	v_pk_add_f32 v[10:11], v[0:1], v[2:3]
	v_pk_add_f32 v[12:13], v[4:5], v[6:7]
	v_pk_add_f32 v[14:15], v[2:3], v[8:9] neg_lo:[0,1] neg_hi:[0,1]
	v_pk_add_f32 v[16:17], v[4:5], v[6:7] neg_lo:[0,1] neg_hi:[0,1]
	;; [unrolled: 1-line block ×3, first 2 shown]
	v_pk_add_f32 v[22:23], v[2:3], v[8:9]
	v_pk_add_f32 v[2:3], v[4:5], v[2:3] neg_lo:[0,1] neg_hi:[0,1]
	v_pk_add_f32 v[4:5], v[10:11], v[4:5]
	v_pk_fma_f32 v[10:11], v[12:13], 0.5, v[0:1] op_sel_hi:[1,0,1] neg_lo:[1,0,0] neg_hi:[1,0,0]
	v_pk_mul_f32 v[12:13], v[14:15], s[12:13] op_sel_hi:[1,0]
	v_pk_add_f32 v[20:21], v[8:9], v[6:7] neg_lo:[0,1] neg_hi:[0,1]
	v_pk_add_f32 v[24:25], v[6:7], v[8:9] neg_lo:[0,1] neg_hi:[0,1]
	v_pk_mul_f32 v[26:27], v[16:17], s[10:11] op_sel_hi:[1,0]
	v_pk_add_f32 v[4:5], v[4:5], v[6:7]
	v_pk_add_f32 v[6:7], v[10:11], v[12:13] op_sel:[0,1] op_sel_hi:[1,0]
	v_pk_add_f32 v[10:11], v[10:11], v[12:13] op_sel:[0,1] op_sel_hi:[1,0] neg_lo:[0,1] neg_hi:[0,1]
	v_pk_add_f32 v[18:19], v[18:19], v[20:21]
	v_pk_add_f32 v[20:21], v[4:5], v[8:9]
	v_pk_add_f32 v[4:5], v[10:11], v[26:27] op_sel:[0,1] op_sel_hi:[1,0] neg_lo:[0,1] neg_hi:[0,1]
	v_pk_add_f32 v[6:7], v[6:7], v[26:27] op_sel:[0,1] op_sel_hi:[1,0]
	v_pk_fma_f32 v[0:1], v[22:23], 0.5, v[0:1] op_sel_hi:[1,0,1] neg_lo:[1,0,0] neg_hi:[1,0,0]
	v_pk_mul_f32 v[16:17], v[16:17], s[12:13] op_sel_hi:[1,0]
	v_mov_b32_e32 v9, v5
	v_mov_b32_e32 v5, v7
	v_pk_mul_f32 v[14:15], v[14:15], s[10:11] op_sel_hi:[1,0]
	v_pk_add_f32 v[2:3], v[2:3], v[24:25]
	v_pk_fma_f32 v[24:25], v[18:19], s[14:15], v[4:5] op_sel_hi:[1,0,1]
	v_pk_add_f32 v[4:5], v[0:1], v[16:17] op_sel:[0,1] op_sel_hi:[1,0] neg_lo:[0,1] neg_hi:[0,1]
	v_pk_add_f32 v[0:1], v[0:1], v[16:17] op_sel:[0,1] op_sel_hi:[1,0]
	v_pk_add_f32 v[4:5], v[4:5], v[14:15] op_sel:[0,1] op_sel_hi:[1,0]
	v_pk_add_f32 v[0:1], v[0:1], v[14:15] op_sel:[0,1] op_sel_hi:[1,0] neg_lo:[0,1] neg_hi:[0,1]
	v_mov_b32_e32 v8, v6
	v_mov_b32_e32 v7, v1
	;; [unrolled: 1-line block ×4, first 2 shown]
	v_pk_fma_f32 v[30:31], v[2:3], s[14:15], v[0:1] op_sel_hi:[1,0,1]
	v_mul_lo_u16_e32 v0, 5, v43
	v_pk_fma_f32 v[22:23], v[18:19], s[14:15], v[8:9] op_sel_hi:[1,0,1]
	v_pk_fma_f32 v[28:29], v[2:3], s[14:15], v[6:7] op_sel_hi:[1,0,1]
	v_lshl_add_u32 v152, v0, 3, v151
	ds_write2_b64 v152, v[20:21], v[22:23] offset1:1
	ds_write2_b64 v152, v[28:29], v[30:31] offset0:2 offset1:3
	ds_write_b64 v152, v[24:25] offset:32
	s_waitcnt lgkmcnt(0)
	s_barrier
	s_and_saveexec_b64 s[10:11], vcc
	s_cbranch_execz .LBB0_3
; %bb.2:
	ds_read2_b64 v[20:23], v150 offset1:5
	ds_read2_b64 v[32:35], v150 offset0:30 offset1:35
	ds_read2_b64 v[28:31], v150 offset0:10 offset1:15
	;; [unrolled: 1-line block ×4, first 2 shown]
	ds_read_b64 v[54:55], v150 offset:400
	s_waitcnt lgkmcnt(4)
	v_mov_b32_e32 v56, v33
	v_mov_b32_e32 v58, v35
	s_waitcnt lgkmcnt(2)
	v_mov_b32_e32 v60, v37
	v_mov_b32_e32 v62, v39
	s_waitcnt lgkmcnt(0)
	v_mov_b32_e32 v64, v55
	v_mov_b32_e32 v66, v27
.LBB0_3:
	s_or_b64 exec, exec, s[10:11]
	s_movk_i32 s10, 0xcd
	v_mul_lo_u16_sdwa v0, v43, s10 dst_sel:DWORD dst_unused:UNUSED_PAD src0_sel:BYTE_0 src1_sel:DWORD
	v_lshrrev_b16_e32 v0, 10, v0
	v_mul_lo_u16_e32 v0, 5, v0
	v_sub_u16_e32 v0, v43, v0
	v_mul_lo_u16_e32 v0, 10, v0
	v_and_b32_e32 v0, 0xfe, v0
	v_lshlrev_b32_e32 v27, 3, v0
	global_load_dwordx4 v[0:3], v27, s[6:7]
	global_load_dwordx4 v[8:11], v27, s[6:7] offset:16
	global_load_dwordx4 v[4:7], v27, s[6:7] offset:32
	;; [unrolled: 1-line block ×4, first 2 shown]
	s_mov_b32 s14, 0xbf68dda4
	s_mov_b32 s10, 0xbf4178ce
	;; [unrolled: 1-line block ×13, first 2 shown]
	s_waitcnt vmcnt(4)
	v_pk_mul_f32 v[68:69], v[28:29], v[2:3] op_sel:[1,0]
	s_waitcnt vmcnt(3)
	v_pk_mul_f32 v[70:71], v[30:31], v[8:9] op_sel:[1,0]
	v_pk_mul_f32 v[72:73], v[24:25], v[10:11] op_sel:[1,0]
	s_waitcnt vmcnt(2)
	v_pk_mul_f32 v[66:67], v[66:67], v[4:5] op_sel_hi:[0,1]
	v_pk_mul_f32 v[74:75], v[56:57], v[6:7] op_sel_hi:[0,1]
	s_waitcnt vmcnt(0)
	v_pk_mul_f32 v[80:81], v[62:63], v[16:17] op_sel_hi:[0,1]
	v_pk_mul_f32 v[82:83], v[64:65], v[18:19] op_sel_hi:[0,1]
	v_pk_mul_f32 v[84:85], v[22:23], v[0:1] op_sel:[1,0]
	v_pk_mul_f32 v[76:77], v[58:59], v[12:13] op_sel_hi:[0,1]
	v_pk_mul_f32 v[78:79], v[60:61], v[14:15] op_sel_hi:[0,1]
	v_pk_fma_f32 v[56:57], v[28:29], v[2:3], v[68:69] op_sel:[0,0,1] op_sel_hi:[1,1,0] neg_lo:[0,0,1] neg_hi:[0,0,1]
	v_pk_fma_f32 v[28:29], v[28:29], v[2:3], v[68:69] op_sel:[0,0,1] op_sel_hi:[0,1,0]
	v_pk_fma_f32 v[58:59], v[30:31], v[8:9], v[70:71] op_sel:[0,0,1] op_sel_hi:[1,1,0] neg_lo:[0,0,1] neg_hi:[0,0,1]
	v_pk_fma_f32 v[68:69], v[30:31], v[8:9], v[70:71] op_sel:[0,0,1] op_sel_hi:[0,1,0]
	v_pk_fma_f32 v[30:31], v[24:25], v[10:11], v[72:73] op_sel:[0,0,1] op_sel_hi:[1,1,0] neg_lo:[0,0,1] neg_hi:[0,0,1]
	v_pk_fma_f32 v[24:25], v[24:25], v[10:11], v[72:73] op_sel:[0,0,1] op_sel_hi:[0,1,0]
	v_pk_fma_f32 v[60:61], v[26:27], v[4:5], v[66:67] op_sel:[0,0,1] op_sel_hi:[1,1,0] neg_lo:[0,0,1] neg_hi:[0,0,1]
	v_pk_fma_f32 v[26:27], v[26:27], v[4:5], v[66:67] op_sel:[0,0,1] op_sel_hi:[0,1,0]
	v_pk_fma_f32 v[62:63], v[32:33], v[6:7], v[74:75] op_sel:[0,0,1] op_sel_hi:[1,1,0] neg_lo:[0,0,1] neg_hi:[0,0,1]
	v_pk_fma_f32 v[66:67], v[32:33], v[6:7], v[74:75] op_sel:[0,0,1] op_sel_hi:[0,1,0]
	v_pk_fma_f32 v[64:65], v[38:39], v[16:17], v[80:81] op_sel:[0,0,1] op_sel_hi:[1,1,0] neg_lo:[0,0,1] neg_hi:[0,0,1]
	v_pk_fma_f32 v[72:73], v[38:39], v[16:17], v[80:81] op_sel:[0,0,1] op_sel_hi:[0,1,0]
	v_pk_fma_f32 v[38:39], v[54:55], v[18:19], v[82:83] op_sel:[0,0,1] op_sel_hi:[1,1,0] neg_lo:[0,0,1] neg_hi:[0,0,1]
	v_pk_fma_f32 v[54:55], v[54:55], v[18:19], v[82:83] op_sel:[0,0,1] op_sel_hi:[0,1,0]
	v_pk_fma_f32 v[74:75], v[22:23], v[0:1], v[84:85] op_sel:[0,0,1] op_sel_hi:[1,1,0] neg_lo:[0,0,1] neg_hi:[0,0,1]
	v_pk_fma_f32 v[22:23], v[22:23], v[0:1], v[84:85] op_sel:[0,0,1] op_sel_hi:[0,1,0]
	v_mov_b32_e32 v75, v23
	v_mov_b32_e32 v39, v55
	v_pk_fma_f32 v[32:33], v[34:35], v[12:13], v[76:77] op_sel:[0,0,1] op_sel_hi:[1,1,0] neg_lo:[0,0,1] neg_hi:[0,0,1]
	v_pk_fma_f32 v[70:71], v[34:35], v[12:13], v[76:77] op_sel:[0,0,1] op_sel_hi:[0,1,0]
	v_pk_fma_f32 v[34:35], v[36:37], v[14:15], v[78:79] op_sel:[0,0,1] op_sel_hi:[1,1,0] neg_lo:[0,0,1] neg_hi:[0,0,1]
	v_pk_fma_f32 v[36:37], v[36:37], v[14:15], v[78:79] op_sel:[0,0,1] op_sel_hi:[0,1,0]
	v_mov_b32_e32 v57, v29
	v_mov_b32_e32 v65, v73
	v_pk_add_f32 v[54:55], v[74:75], v[38:39] neg_lo:[0,1] neg_hi:[0,1]
	v_mov_b32_e32 v59, v69
	v_mov_b32_e32 v35, v37
	v_pk_add_f32 v[36:37], v[74:75], v[38:39]
	v_pk_add_f32 v[132:133], v[56:57], v[64:65] neg_lo:[0,1] neg_hi:[0,1]
	v_pk_mul_f32 v[22:23], v[54:55], s[14:15] op_sel:[1,0] op_sel_hi:[0,0]
	v_mov_b32_e32 v31, v25
	v_pk_add_f32 v[128:129], v[56:57], v[64:65]
	v_pk_add_f32 v[138:139], v[58:59], v[34:35] neg_lo:[0,1] neg_hi:[0,1]
	v_pk_mul_f32 v[24:25], v[132:133], s[10:11] op_sel:[1,0] op_sel_hi:[0,0]
	v_pk_fma_f32 v[84:85], v[36:37], s[12:13], v[22:23] op_sel_hi:[1,0,1]
	v_pk_fma_f32 v[86:87], v[36:37], s[12:13], v[22:23] op_sel_hi:[1,0,1] neg_lo:[0,0,1] neg_hi:[0,0,1]
	v_mov_b32_e32 v61, v27
	v_pk_add_f32 v[140:141], v[58:59], v[34:35]
	v_pk_mul_f32 v[26:27], v[138:139], s[24:25] op_sel:[1,0] op_sel_hi:[0,0]
	v_pk_fma_f32 v[80:81], v[128:129], s[6:7], v[24:25] op_sel_hi:[1,0,1]
	v_pk_fma_f32 v[82:83], v[128:129], s[6:7], v[24:25] op_sel_hi:[1,0,1] neg_lo:[0,0,1] neg_hi:[0,0,1]
	v_mov_b32_e32 v22, v84
	v_mov_b32_e32 v23, v87
	v_pk_mul_f32 v[68:69], v[54:55], s[20:21] op_sel:[1,0] op_sel_hi:[0,0]
	v_pk_fma_f32 v[76:77], v[140:141], s[16:17], v[26:27] op_sel_hi:[1,0,1]
	v_pk_fma_f32 v[78:79], v[140:141], s[16:17], v[26:27] op_sel_hi:[1,0,1] neg_lo:[0,0,1] neg_hi:[0,0,1]
	v_mov_b32_e32 v24, v80
	v_mov_b32_e32 v25, v83
	v_pk_add_f32 v[22:23], v[20:21], v[22:23]
	v_mov_b32_e32 v63, v67
	v_pk_fma_f32 v[66:67], v[36:37], s[18:19], v[68:69] op_sel_hi:[1,0,1]
	v_pk_fma_f32 v[68:69], v[36:37], s[18:19], v[68:69] op_sel_hi:[1,0,1] neg_lo:[0,0,1] neg_hi:[0,0,1]
	v_mov_b32_e32 v26, v76
	v_mov_b32_e32 v27, v79
	v_pk_add_f32 v[22:23], v[24:25], v[22:23]
	v_mov_b32_e32 v88, v66
	v_mov_b32_e32 v89, v69
	v_pk_add_f32 v[22:23], v[26:27], v[22:23]
	v_pk_mul_f32 v[26:27], v[132:133], s[24:25] op_sel:[1,0] op_sel_hi:[0,0]
	v_pk_add_f32 v[24:25], v[20:21], v[88:89]
	v_pk_fma_f32 v[88:89], v[128:129], s[16:17], v[26:27] op_sel_hi:[1,0,1]
	v_pk_fma_f32 v[90:91], v[128:129], s[16:17], v[26:27] op_sel_hi:[1,0,1] neg_lo:[0,0,1] neg_hi:[0,0,1]
	v_mov_b32_e32 v26, v88
	v_mov_b32_e32 v27, v91
	v_pk_add_f32 v[24:25], v[26:27], v[24:25]
	v_pk_mul_f32 v[26:27], v[138:139], s[28:29] op_sel:[1,0] op_sel_hi:[0,0]
	v_mov_b32_e32 v33, v71
	v_pk_fma_f32 v[92:93], v[140:141], s[12:13], v[26:27] op_sel_hi:[1,0,1]
	v_pk_fma_f32 v[94:95], v[140:141], s[12:13], v[26:27] op_sel_hi:[1,0,1] neg_lo:[0,0,1] neg_hi:[0,0,1]
	v_pk_add_f32 v[142:143], v[30:31], v[32:33] neg_lo:[0,1] neg_hi:[0,1]
	v_mov_b32_e32 v26, v92
	v_mov_b32_e32 v27, v95
	v_pk_add_f32 v[144:145], v[30:31], v[32:33]
	v_pk_add_f32 v[24:25], v[26:27], v[24:25]
	s_mov_b32 s24, 0x3f575c64
	v_pk_mul_f32 v[26:27], v[142:143], s[30:31] op_sel:[1,0] op_sel_hi:[0,0]
	v_pk_fma_f32 v[96:97], v[144:145], s[24:25], v[26:27] op_sel_hi:[1,0,1]
	v_pk_fma_f32 v[98:99], v[144:145], s[24:25], v[26:27] op_sel_hi:[1,0,1] neg_lo:[0,0,1] neg_hi:[0,0,1]
	v_pk_mul_f32 v[28:29], v[142:143], s[22:23] op_sel:[1,0] op_sel_hi:[0,0]
	v_mov_b32_e32 v26, v96
	v_mov_b32_e32 v27, v99
	v_pk_add_f32 v[146:147], v[60:61], v[62:63] neg_lo:[0,1] neg_hi:[0,1]
	v_pk_fma_f32 v[70:71], v[144:145], s[18:19], v[28:29] op_sel_hi:[1,0,1]
	v_pk_fma_f32 v[72:73], v[144:145], s[18:19], v[28:29] op_sel_hi:[1,0,1] neg_lo:[0,0,1] neg_hi:[0,0,1]
	v_pk_add_f32 v[26:27], v[26:27], v[24:25]
	v_pk_add_f32 v[148:149], v[60:61], v[62:63]
	v_pk_mul_f32 v[24:25], v[146:147], s[34:35] op_sel:[1,0] op_sel_hi:[0,0]
	v_mov_b32_e32 v28, v70
	v_mov_b32_e32 v29, v73
	v_pk_fma_f32 v[104:105], v[148:149], s[24:25], v[24:25] op_sel_hi:[1,0,1]
	v_pk_fma_f32 v[106:107], v[148:149], s[24:25], v[24:25] op_sel_hi:[1,0,1] neg_lo:[0,0,1] neg_hi:[0,0,1]
	v_pk_add_f32 v[22:23], v[28:29], v[22:23]
	v_mov_b32_e32 v24, v104
	v_mov_b32_e32 v25, v107
	v_pk_add_f32 v[24:25], v[24:25], v[22:23]
	v_pk_mul_f32 v[22:23], v[146:147], s[10:11] op_sel:[1,0] op_sel_hi:[0,0]
	v_pk_fma_f32 v[100:101], v[148:149], s[6:7], v[22:23] op_sel_hi:[1,0,1]
	v_pk_fma_f32 v[102:103], v[148:149], s[6:7], v[22:23] op_sel_hi:[1,0,1] neg_lo:[0,0,1] neg_hi:[0,0,1]
	v_mov_b32_e32 v22, v100
	v_mov_b32_e32 v23, v103
	v_pk_add_f32 v[22:23], v[22:23], v[26:27]
	v_pk_mul_f32 v[26:27], v[54:55], s[26:27] op_sel:[1,0] op_sel_hi:[0,0]
	v_pk_fma_f32 v[154:155], v[36:37], s[16:17], v[26:27] op_sel_hi:[1,0,1]
	v_pk_fma_f32 v[156:157], v[36:37], s[16:17], v[26:27] op_sel_hi:[1,0,1] neg_lo:[0,0,1] neg_hi:[0,0,1]
	v_pk_mul_f32 v[28:29], v[132:133], s[34:35] op_sel:[1,0] op_sel_hi:[0,0]
	v_mov_b32_e32 v26, v154
	v_mov_b32_e32 v27, v157
	v_pk_fma_f32 v[158:159], v[128:129], s[24:25], v[28:29] op_sel_hi:[1,0,1]
	v_pk_fma_f32 v[160:161], v[128:129], s[24:25], v[28:29] op_sel_hi:[1,0,1] neg_lo:[0,0,1] neg_hi:[0,0,1]
	v_pk_add_f32 v[26:27], v[20:21], v[26:27]
	v_mov_b32_e32 v28, v158
	v_mov_b32_e32 v29, v161
	v_pk_add_f32 v[26:27], v[28:29], v[26:27]
	v_pk_mul_f32 v[28:29], v[138:139], s[10:11] op_sel:[1,0] op_sel_hi:[0,0]
	v_pk_fma_f32 v[162:163], v[140:141], s[6:7], v[28:29] op_sel_hi:[1,0,1]
	v_pk_fma_f32 v[164:165], v[140:141], s[6:7], v[28:29] op_sel_hi:[1,0,1] neg_lo:[0,0,1] neg_hi:[0,0,1]
	v_mov_b32_e32 v28, v162
	v_mov_b32_e32 v29, v165
	v_pk_add_f32 v[26:27], v[28:29], v[26:27]
	v_pk_mul_f32 v[28:29], v[142:143], s[28:29] op_sel:[1,0] op_sel_hi:[0,0]
	v_pk_fma_f32 v[166:167], v[144:145], s[12:13], v[28:29] op_sel_hi:[1,0,1]
	v_pk_fma_f32 v[168:169], v[144:145], s[12:13], v[28:29] op_sel_hi:[1,0,1] neg_lo:[0,0,1] neg_hi:[0,0,1]
	;; [unrolled: 6-line block ×3, first 2 shown]
	v_pk_mul_f32 v[114:115], v[132:133], s[22:23] op_sel:[1,0] op_sel_hi:[0,0]
	v_mov_b32_e32 v28, v108
	v_mov_b32_e32 v29, v111
	v_pk_fma_f32 v[112:113], v[128:129], s[18:19], v[114:115] op_sel_hi:[1,0,1]
	v_pk_fma_f32 v[114:115], v[128:129], s[18:19], v[114:115] op_sel_hi:[1,0,1] neg_lo:[0,0,1] neg_hi:[0,0,1]
	v_pk_add_f32 v[28:29], v[20:21], v[28:29]
	v_mov_b32_e32 v116, v112
	v_mov_b32_e32 v117, v115
	v_pk_mul_f32 v[118:119], v[138:139], s[30:31] op_sel:[1,0] op_sel_hi:[0,0]
	v_pk_add_f32 v[28:29], v[116:117], v[28:29]
	v_pk_fma_f32 v[116:117], v[140:141], s[24:25], v[118:119] op_sel_hi:[1,0,1]
	v_pk_fma_f32 v[118:119], v[140:141], s[24:25], v[118:119] op_sel_hi:[1,0,1] neg_lo:[0,0,1] neg_hi:[0,0,1]
	v_mov_b32_e32 v120, v116
	v_mov_b32_e32 v121, v119
	v_pk_mul_f32 v[122:123], v[142:143], s[26:27] op_sel:[1,0] op_sel_hi:[0,0]
	v_pk_add_f32 v[28:29], v[120:121], v[28:29]
	v_pk_fma_f32 v[120:121], v[144:145], s[16:17], v[122:123] op_sel_hi:[1,0,1]
	v_pk_fma_f32 v[122:123], v[144:145], s[16:17], v[122:123] op_sel_hi:[1,0,1] neg_lo:[0,0,1] neg_hi:[0,0,1]
	;; [unrolled: 6-line block ×3, first 2 shown]
	v_mov_b32_e32 v130, v124
	v_mov_b32_e32 v131, v127
	v_pk_add_f32 v[28:29], v[130:131], v[28:29]
	v_pk_mul_f32 v[130:131], v[146:147], s[20:21] op_sel:[1,0] op_sel_hi:[0,0]
	v_pk_fma_f32 v[170:171], v[148:149], s[18:19], v[130:131] op_sel_hi:[1,0,1] neg_lo:[0,0,1] neg_hi:[0,0,1]
	v_pk_fma_f32 v[130:131], v[148:149], s[18:19], v[130:131] op_sel_hi:[1,0,1]
	v_pk_mul_f32 v[54:55], v[54:55], s[30:31] op_sel:[1,0] op_sel_hi:[0,0]
	v_mov_b32_e32 v173, v131
	v_mov_b32_e32 v131, v171
	v_pk_add_f32 v[26:27], v[130:131], v[26:27]
	v_pk_fma_f32 v[130:131], v[36:37], s[24:25], v[54:55] op_sel_hi:[1,0,1]
	v_pk_fma_f32 v[136:137], v[36:37], s[24:25], v[54:55] op_sel_hi:[1,0,1] neg_lo:[0,0,1] neg_hi:[0,0,1]
	v_pk_mul_f32 v[36:37], v[132:133], s[14:15] op_sel:[1,0] op_sel_hi:[0,0]
	v_pk_fma_f32 v[132:133], v[128:129], s[12:13], v[36:37] op_sel_hi:[1,0,1]
	v_pk_fma_f32 v[134:135], v[128:129], s[12:13], v[36:37] op_sel_hi:[1,0,1] neg_lo:[0,0,1] neg_hi:[0,0,1]
	v_mov_b32_e32 v36, v130
	v_mov_b32_e32 v37, v137
	v_pk_add_f32 v[36:37], v[20:21], v[36:37]
	v_mov_b32_e32 v54, v132
	v_mov_b32_e32 v55, v135
	v_pk_add_f32 v[36:37], v[54:55], v[36:37]
	v_pk_mul_f32 v[54:55], v[138:139], s[20:21] op_sel:[1,0] op_sel_hi:[0,0]
	v_pk_fma_f32 v[138:139], v[140:141], s[18:19], v[54:55] op_sel_hi:[1,0,1]
	v_pk_fma_f32 v[140:141], v[140:141], s[18:19], v[54:55] op_sel_hi:[1,0,1] neg_lo:[0,0,1] neg_hi:[0,0,1]
	v_mov_b32_e32 v54, v138
	v_mov_b32_e32 v55, v141
	v_pk_add_f32 v[36:37], v[54:55], v[36:37]
	v_pk_mul_f32 v[54:55], v[142:143], s[10:11] op_sel:[1,0] op_sel_hi:[0,0]
	v_pk_fma_f32 v[142:143], v[144:145], s[6:7], v[54:55] op_sel_hi:[1,0,1]
	v_pk_fma_f32 v[144:145], v[144:145], s[6:7], v[54:55] op_sel_hi:[1,0,1] neg_lo:[0,0,1] neg_hi:[0,0,1]
	;; [unrolled: 6-line block ×3, first 2 shown]
	v_mov_b32_e32 v54, v146
	v_mov_b32_e32 v55, v149
	;; [unrolled: 1-line block ×3, first 2 shown]
	v_pk_add_f32 v[54:55], v[54:55], v[36:37]
	v_mov_b32_e32 v161, v159
	v_pk_add_f32 v[36:37], v[20:21], v[156:157]
	v_mov_b32_e32 v165, v163
	;; [unrolled: 2-line block ×4, first 2 shown]
	v_pk_add_f32 v[36:37], v[168:169], v[36:37]
	v_lshl_add_u64 v[128:129], s[4:5], 0, v[40:41]
	v_pk_add_f32 v[36:37], v[172:173], v[36:37]
	s_and_saveexec_b64 s[6:7], vcc
	s_cbranch_execz .LBB0_5
; %bb.4:
	v_pk_add_f32 v[74:75], v[20:21], v[74:75]
	v_mov_b32_e32 v137, v131
	v_pk_add_f32 v[56:57], v[74:75], v[56:57]
	v_mov_b32_e32 v87, v85
	;; [unrolled: 2-line block ×6, first 2 shown]
	v_pk_add_f32 v[30:31], v[30:31], v[32:33]
	v_pk_add_f32 v[32:33], v[20:21], v[86:87]
	;; [unrolled: 1-line block ×5, first 2 shown]
	v_mov_b32_e32 v145, v143
	v_pk_add_f32 v[30:31], v[30:31], v[38:39]
	ds_write_b64 v150, v[30:31]
	v_pk_add_f32 v[30:31], v[20:21], v[136:137]
	v_pk_add_f32 v[32:33], v[78:79], v[32:33]
	;; [unrolled: 1-line block ×3, first 2 shown]
	v_mov_b32_e32 v73, v71
	v_pk_add_f32 v[30:31], v[140:141], v[30:31]
	v_mov_b32_e32 v149, v147
	v_pk_add_f32 v[30:31], v[144:145], v[30:31]
	v_pk_add_f32 v[32:33], v[72:73], v[32:33]
	v_mov_b32_e32 v107, v105
	v_lshl_add_u32 v34, v43, 3, v151
	v_pk_add_f32 v[30:31], v[148:149], v[30:31]
	v_pk_add_f32 v[32:33], v[106:107], v[32:33]
	v_mov_b32_e32 v69, v67
	v_mov_b32_e32 v111, v109
	ds_write2_b64 v34, v[30:31], v[32:33] offset0:5 offset1:10
	v_pk_add_f32 v[30:31], v[20:21], v[68:69]
	v_mov_b32_e32 v91, v89
	v_pk_add_f32 v[20:21], v[20:21], v[110:111]
	v_mov_b32_e32 v115, v113
	;; [unrolled: 2-line block ×8, first 2 shown]
	v_pk_add_f32 v[30:31], v[102:103], v[30:31]
	v_pk_add_f32 v[20:21], v[126:127], v[20:21]
	ds_write2_b64 v34, v[30:31], v[20:21] offset0:15 offset1:20
	ds_write2_b64 v34, v[36:37], v[26:27] offset0:25 offset1:30
	;; [unrolled: 1-line block ×4, first 2 shown]
.LBB0_5:
	s_or_b64 exec, exec, s[6:7]
	s_waitcnt lgkmcnt(0)
	s_barrier
	global_load_dwordx2 v[20:21], v[128:129], off offset:440
	s_add_u32 s4, s4, 0x1b8
	s_addc_u32 s5, s5, 0
	global_load_dwordx2 v[34:35], v40, s[4:5] offset:88
	global_load_dwordx2 v[38:39], v40, s[4:5] offset:176
	;; [unrolled: 1-line block ×4, first 2 shown]
	ds_read2_b64 v[30:33], v150 offset1:11
	s_mov_b32 s4, 0x3f737871
	s_mov_b32 s6, 0x3f167918
	;; [unrolled: 1-line block ×3, first 2 shown]
	s_waitcnt vmcnt(4) lgkmcnt(0)
	v_mul_f32_e32 v40, v31, v21
	v_mul_f32_e32 v41, v30, v21
	v_fma_f32 v40, v30, v20, -v40
	v_fmac_f32_e32 v41, v31, v20
	s_waitcnt vmcnt(3)
	v_mul_f32_e32 v20, v33, v35
	v_mul_f32_e32 v21, v32, v35
	v_fma_f32 v20, v32, v34, -v20
	v_fmac_f32_e32 v21, v33, v34
	ds_write2_b64 v150, v[40:41], v[20:21] offset1:11
	ds_read2_b64 v[30:33], v150 offset0:22 offset1:33
	ds_read_b64 v[20:21], v150 offset:352
	s_waitcnt vmcnt(2) lgkmcnt(1)
	v_mul_f32_e32 v34, v31, v39
	v_mul_f32_e32 v35, v30, v39
	s_waitcnt vmcnt(1)
	v_mul_f32_e32 v40, v33, v57
	v_mul_f32_e32 v39, v32, v57
	s_waitcnt vmcnt(0) lgkmcnt(0)
	v_mul_f32_e32 v57, v21, v59
	v_mul_f32_e32 v41, v20, v59
	v_fma_f32 v34, v30, v38, -v34
	v_fmac_f32_e32 v35, v31, v38
	v_fma_f32 v38, v32, v56, -v40
	v_fmac_f32_e32 v39, v33, v56
	;; [unrolled: 2-line block ×3, first 2 shown]
	ds_write2_b64 v150, v[34:35], v[38:39] offset0:22 offset1:33
	ds_write_b64 v150, v[40:41] offset:352
	s_waitcnt lgkmcnt(0)
	s_barrier
	ds_read2_b64 v[30:33], v150 offset1:11
	ds_read2_b64 v[38:41], v150 offset0:22 offset1:33
	ds_read_b64 v[20:21], v150 offset:352
	s_waitcnt lgkmcnt(0)
	s_barrier
	v_pk_add_f32 v[34:35], v[38:39], v[40:41]
	v_pk_add_f32 v[56:57], v[32:33], v[20:21] neg_lo:[0,1] neg_hi:[0,1]
	v_pk_add_f32 v[58:59], v[38:39], v[40:41] neg_lo:[0,1] neg_hi:[0,1]
	v_pk_add_f32 v[64:65], v[32:33], v[20:21]
	v_pk_add_f32 v[60:61], v[32:33], v[38:39] neg_lo:[0,1] neg_hi:[0,1]
	v_pk_add_f32 v[66:67], v[38:39], v[32:33] neg_lo:[0,1] neg_hi:[0,1]
	v_pk_add_f32 v[32:33], v[30:31], v[32:33]
	v_pk_fma_f32 v[34:35], v[34:35], 0.5, v[30:31] op_sel_hi:[1,0,1] neg_lo:[1,0,0] neg_hi:[1,0,0]
	v_pk_mul_f32 v[70:71], v[56:57], s[4:5] op_sel_hi:[1,0]
	v_pk_mul_f32 v[72:73], v[58:59], s[6:7] op_sel_hi:[1,0]
	v_pk_fma_f32 v[30:31], v[64:65], 0.5, v[30:31] op_sel_hi:[1,0,1] neg_lo:[1,0,0] neg_hi:[1,0,0]
	v_pk_mul_f32 v[58:59], v[58:59], s[4:5] op_sel_hi:[1,0]
	v_pk_mul_f32 v[56:57], v[56:57], s[6:7] op_sel_hi:[1,0]
	v_pk_add_f32 v[32:33], v[32:33], v[38:39]
	v_pk_add_f32 v[38:39], v[34:35], v[70:71] op_sel:[0,1] op_sel_hi:[1,0] neg_lo:[0,1] neg_hi:[0,1]
	v_pk_add_f32 v[34:35], v[34:35], v[70:71] op_sel:[0,1] op_sel_hi:[1,0]
	v_pk_add_f32 v[64:65], v[30:31], v[58:59] op_sel:[0,1] op_sel_hi:[1,0]
	v_pk_add_f32 v[30:31], v[30:31], v[58:59] op_sel:[0,1] op_sel_hi:[1,0] neg_lo:[0,1] neg_hi:[0,1]
	v_pk_add_f32 v[62:63], v[20:21], v[40:41] neg_lo:[0,1] neg_hi:[0,1]
	v_pk_add_f32 v[68:69], v[40:41], v[20:21] neg_lo:[0,1] neg_hi:[0,1]
	v_pk_add_f32 v[32:33], v[32:33], v[40:41]
	v_pk_add_f32 v[34:35], v[34:35], v[72:73] op_sel:[0,1] op_sel_hi:[1,0]
	v_pk_add_f32 v[38:39], v[38:39], v[72:73] op_sel:[0,1] op_sel_hi:[1,0] neg_lo:[0,1] neg_hi:[0,1]
	v_pk_add_f32 v[40:41], v[30:31], v[56:57] op_sel:[0,1] op_sel_hi:[1,0]
	v_pk_add_f32 v[56:57], v[64:65], v[56:57] op_sel:[0,1] op_sel_hi:[1,0] neg_lo:[0,1] neg_hi:[0,1]
	v_pk_add_f32 v[60:61], v[60:61], v[62:63]
	v_pk_add_f32 v[62:63], v[66:67], v[68:69]
	;; [unrolled: 1-line block ×3, first 2 shown]
	v_mov_b32_e32 v20, v38
	v_mov_b32_e32 v21, v35
	;; [unrolled: 1-line block ×6, first 2 shown]
	v_pk_fma_f32 v[32:33], v[60:61], s[10:11], v[20:21] op_sel_hi:[1,0,1]
	v_pk_fma_f32 v[34:35], v[60:61], s[10:11], v[34:35] op_sel_hi:[1,0,1]
	;; [unrolled: 1-line block ×4, first 2 shown]
	ds_write2_b64 v152, v[30:31], v[32:33] offset1:1
	ds_write2_b64 v152, v[38:39], v[40:41] offset0:2 offset1:3
	ds_write_b64 v152, v[34:35] offset:32
	s_waitcnt lgkmcnt(0)
	s_barrier
	s_and_saveexec_b64 s[4:5], vcc
	s_cbranch_execz .LBB0_7
; %bb.6:
	ds_read2_b64 v[30:33], v150 offset1:5
	ds_read2_b64 v[38:41], v150 offset0:10 offset1:15
	ds_read2_b64 v[34:37], v150 offset0:20 offset1:25
	;; [unrolled: 1-line block ×4, first 2 shown]
	ds_read_b64 v[54:55], v150 offset:400
.LBB0_7:
	s_or_b64 exec, exec, s[4:5]
	s_and_saveexec_b64 s[4:5], vcc
	s_cbranch_execz .LBB0_9
; %bb.8:
	s_waitcnt lgkmcnt(0)
	v_pk_mul_f32 v[20:21], v[18:19], v[54:55] op_sel:[0,1]
	v_pk_mul_f32 v[60:61], v[2:3], v[38:39] op_sel_hi:[1,0]
	v_pk_fma_f32 v[74:75], v[18:19], v[54:55], v[20:21] op_sel:[0,0,1] op_sel_hi:[1,1,0]
	v_pk_fma_f32 v[18:19], v[18:19], v[54:55], v[20:21] op_sel:[0,0,1] op_sel_hi:[1,0,0] neg_lo:[1,0,0] neg_hi:[1,0,0]
	v_pk_mul_f32 v[58:59], v[16:17], v[24:25] op_sel:[0,1]
	v_mov_b32_e32 v75, v19
	v_pk_fma_f32 v[18:19], v[2:3], v[38:39], v[60:61] op_sel:[1,1,0] op_sel_hi:[0,1,1]
	v_pk_fma_f32 v[2:3], v[2:3], v[38:39], v[60:61] op_sel:[1,1,0] op_sel_hi:[0,1,1] neg_lo:[0,0,1] neg_hi:[0,0,1]
	v_pk_mul_f32 v[64:65], v[8:9], v[40:41] op_sel:[0,1]
	v_mov_b32_e32 v19, v3
	;; [unrolled: 4-line block ×8, first 2 shown]
	v_pk_fma_f32 v[4:5], v[6:7], v[26:27], v[70:71] op_sel:[0,0,1] op_sel_hi:[1,1,0]
	v_pk_fma_f32 v[6:7], v[6:7], v[26:27], v[70:71] op_sel:[0,0,1] op_sel_hi:[1,0,0] neg_lo:[1,0,0] neg_hi:[1,0,0]
	s_mov_b32 s20, 0xbf0a6770
	v_mov_b32_e32 v5, v7
	v_pk_fma_f32 v[6:7], v[0:1], v[32:33], v[56:57] op_sel:[0,0,1] op_sel_hi:[1,1,0]
	v_pk_fma_f32 v[0:1], v[0:1], v[32:33], v[56:57] op_sel:[0,0,1] op_sel_hi:[1,0,0] neg_lo:[1,0,0] neg_hi:[1,0,0]
	v_pk_add_f32 v[36:37], v[4:5], v[12:13]
	v_mov_b32_e32 v7, v1
	v_pk_add_f32 v[0:1], v[74:75], v[6:7]
	v_pk_add_f32 v[20:21], v[6:7], v[74:75] neg_lo:[0,1] neg_hi:[0,1]
	v_pk_add_f32 v[6:7], v[30:31], v[6:7]
	v_pk_add_f32 v[38:39], v[12:13], v[4:5] neg_lo:[0,1] neg_hi:[0,1]
	v_pk_add_f32 v[6:7], v[18:19], v[6:7]
	v_pk_add_f32 v[22:23], v[2:3], v[18:19]
	;; [unrolled: 1-line block ×3, first 2 shown]
	v_pk_add_f32 v[24:25], v[18:19], v[2:3] neg_lo:[0,1] neg_hi:[0,1]
	v_pk_add_f32 v[6:7], v[14:15], v[6:7]
	s_mov_b32 s10, 0x3f575c64
	v_pk_add_f32 v[6:7], v[12:13], v[6:7]
	v_pk_mul_f32 v[40:41], v[20:21], s[20:21] op_sel_hi:[1,0]
	v_pk_add_f32 v[4:5], v[4:5], v[6:7]
	s_mov_b32 s26, 0xbf68dda4
	v_pk_add_f32 v[4:5], v[10:11], v[4:5]
	v_pk_fma_f32 v[54:55], v[0:1], s[10:11], v[40:41] op_sel:[0,0,1] op_sel_hi:[1,0,0]
	v_pk_add_f32 v[4:5], v[8:9], v[4:5]
	v_pk_fma_f32 v[40:41], v[0:1], s[10:11], v[40:41] op_sel:[0,0,1] op_sel_hi:[1,0,0] neg_lo:[0,0,1] neg_hi:[0,0,1]
	v_pk_add_f32 v[2:3], v[2:3], v[4:5]
	s_mov_b32 s6, 0x3ed4b147
	v_pk_mul_f32 v[58:59], v[24:25], s[26:27] op_sel_hi:[1,0]
	v_pk_add_f32 v[2:3], v[74:75], v[2:3]
	v_mov_b32_e32 v56, v54
	v_mov_b32_e32 v57, v41
	v_pk_fma_f32 v[60:61], v[22:23], s[6:7], v[58:59] op_sel:[0,0,1] op_sel_hi:[1,0,0]
	v_pk_fma_f32 v[58:59], v[22:23], s[6:7], v[58:59] op_sel:[0,0,1] op_sel_hi:[1,0,0] neg_lo:[0,0,1] neg_hi:[0,0,1]
	s_mov_b32 s18, 0xbf4178ce
	ds_write_b64 v150, v[2:3]
	v_pk_mul_f32 v[2:3], v[20:21], s[26:27] op_sel_hi:[1,0]
	v_pk_add_f32 v[26:27], v[8:9], v[16:17]
	v_pk_add_f32 v[28:29], v[16:17], v[8:9] neg_lo:[0,1] neg_hi:[0,1]
	v_pk_add_f32 v[56:57], v[30:31], v[56:57]
	v_mov_b32_e32 v62, v60
	v_mov_b32_e32 v63, v59
	s_mov_b32 s14, 0xbf7d64f0
	s_mov_b32 s16, 0xbf27a4f4
	v_pk_fma_f32 v[4:5], v[0:1], s[6:7], v[2:3] op_sel:[0,0,1] op_sel_hi:[1,0,0]
	v_pk_fma_f32 v[2:3], v[0:1], s[6:7], v[2:3] op_sel:[0,0,1] op_sel_hi:[1,0,0] neg_lo:[0,0,1] neg_hi:[0,0,1]
	v_pk_mul_f32 v[8:9], v[24:25], s[18:19] op_sel_hi:[1,0]
	v_pk_add_f32 v[32:33], v[10:11], v[14:15]
	v_pk_add_f32 v[34:35], v[14:15], v[10:11] neg_lo:[0,1] neg_hi:[0,1]
	v_pk_add_f32 v[56:57], v[62:63], v[56:57]
	s_mov_b32 s12, 0xbe11bafb
	v_pk_mul_f32 v[62:63], v[28:29], s[14:15] op_sel_hi:[1,0]
	v_mov_b32_e32 v6, v4
	v_mov_b32_e32 v7, v3
	v_pk_fma_f32 v[10:11], v[22:23], s[16:17], v[8:9] op_sel:[0,0,1] op_sel_hi:[1,0,0]
	v_pk_fma_f32 v[8:9], v[22:23], s[16:17], v[8:9] op_sel:[0,0,1] op_sel_hi:[1,0,0] neg_lo:[0,0,1] neg_hi:[0,0,1]
	v_pk_fma_f32 v[64:65], v[26:27], s[12:13], v[62:63] op_sel:[0,0,1] op_sel_hi:[1,0,0]
	v_pk_fma_f32 v[62:63], v[26:27], s[12:13], v[62:63] op_sel:[0,0,1] op_sel_hi:[1,0,0] neg_lo:[0,0,1] neg_hi:[0,0,1]
	v_pk_add_f32 v[6:7], v[30:31], v[6:7]
	v_mov_b32_e32 v12, v10
	v_mov_b32_e32 v13, v9
	s_mov_b32 s26, 0x3e903f40
	v_mov_b32_e32 v66, v64
	v_mov_b32_e32 v67, v63
	s_mov_b32 s22, 0xbf75a155
	v_pk_add_f32 v[6:7], v[12:13], v[6:7]
	v_pk_mul_f32 v[12:13], v[28:29], s[26:27] op_sel_hi:[1,0]
	v_pk_add_f32 v[56:57], v[66:67], v[56:57]
	v_pk_mul_f32 v[66:67], v[34:35], s[18:19] op_sel_hi:[1,0]
	v_pk_fma_f32 v[14:15], v[26:27], s[22:23], v[12:13] op_sel:[0,0,1] op_sel_hi:[1,0,0]
	v_pk_fma_f32 v[12:13], v[26:27], s[22:23], v[12:13] op_sel:[0,0,1] op_sel_hi:[1,0,0] neg_lo:[0,0,1] neg_hi:[0,0,1]
	v_pk_fma_f32 v[68:69], v[32:33], s[16:17], v[66:67] op_sel:[0,0,1] op_sel_hi:[1,0,0]
	v_pk_fma_f32 v[66:67], v[32:33], s[16:17], v[66:67] op_sel:[0,0,1] op_sel_hi:[1,0,0] neg_lo:[0,0,1] neg_hi:[0,0,1]
	v_mov_b32_e32 v16, v14
	v_mov_b32_e32 v17, v13
	s_mov_b32 s28, 0x3f7d64f0
	v_mov_b32_e32 v70, v68
	v_mov_b32_e32 v71, v67
	s_mov_b32 s24, 0xbe903f40
	v_pk_add_f32 v[6:7], v[16:17], v[6:7]
	v_pk_mul_f32 v[16:17], v[34:35], s[28:29] op_sel_hi:[1,0]
	v_pk_add_f32 v[56:57], v[70:71], v[56:57]
	v_pk_mul_f32 v[70:71], v[38:39], s[24:25] op_sel_hi:[1,0]
	v_pk_fma_f32 v[18:19], v[32:33], s[12:13], v[16:17] op_sel:[0,0,1] op_sel_hi:[1,0,0]
	v_pk_fma_f32 v[16:17], v[32:33], s[12:13], v[16:17] op_sel:[0,0,1] op_sel_hi:[1,0,0] neg_lo:[0,0,1] neg_hi:[0,0,1]
	v_pk_fma_f32 v[72:73], v[36:37], s[22:23], v[70:71] op_sel:[0,0,1] op_sel_hi:[1,0,0]
	v_pk_fma_f32 v[70:71], v[36:37], s[22:23], v[70:71] op_sel:[0,0,1] op_sel_hi:[1,0,0] neg_lo:[0,0,1] neg_hi:[0,0,1]
	v_mov_b32_e32 v74, v18
	v_mov_b32_e32 v75, v17
	s_mov_b32 s30, 0x3f0a6770
	v_mov_b32_e32 v76, v72
	v_mov_b32_e32 v77, v71
	v_pk_add_f32 v[6:7], v[74:75], v[6:7]
	v_pk_mul_f32 v[74:75], v[38:39], s[30:31] op_sel_hi:[1,0]
	v_pk_add_f32 v[56:57], v[76:77], v[56:57]
	v_pk_fma_f32 v[76:77], v[36:37], s[10:11], v[74:75] op_sel:[0,0,1] op_sel_hi:[1,0,0]
	v_pk_fma_f32 v[74:75], v[36:37], s[10:11], v[74:75] op_sel:[0,0,1] op_sel_hi:[1,0,0] neg_lo:[0,0,1] neg_hi:[0,0,1]
	v_mov_b32_e32 v78, v76
	v_mov_b32_e32 v79, v75
	v_lshl_add_u32 v120, v43, 3, v151
	v_pk_add_f32 v[6:7], v[78:79], v[6:7]
	ds_write2_b64 v120, v[56:57], v[6:7] offset0:5 offset1:10
	v_pk_mul_f32 v[6:7], v[20:21], s[14:15] op_sel_hi:[1,0]
	v_pk_mul_f32 v[80:81], v[24:25], s[26:27] op_sel_hi:[1,0]
	v_pk_fma_f32 v[56:57], v[0:1], s[12:13], v[6:7] op_sel:[0,0,1] op_sel_hi:[1,0,0]
	v_pk_fma_f32 v[6:7], v[0:1], s[12:13], v[6:7] op_sel:[0,0,1] op_sel_hi:[1,0,0] neg_lo:[0,0,1] neg_hi:[0,0,1]
	v_mov_b32_e32 v78, v56
	v_mov_b32_e32 v79, v7
	v_pk_fma_f32 v[82:83], v[22:23], s[22:23], v[80:81] op_sel:[0,0,1] op_sel_hi:[1,0,0]
	v_pk_fma_f32 v[80:81], v[22:23], s[22:23], v[80:81] op_sel:[0,0,1] op_sel_hi:[1,0,0] neg_lo:[0,0,1] neg_hi:[0,0,1]
	v_pk_add_f32 v[78:79], v[30:31], v[78:79]
	v_mov_b32_e32 v84, v82
	v_mov_b32_e32 v85, v81
	s_mov_b32 s26, 0x3f68dda4
	v_pk_add_f32 v[78:79], v[84:85], v[78:79]
	v_pk_mul_f32 v[84:85], v[28:29], s[26:27] op_sel_hi:[1,0]
	v_pk_mul_f32 v[102:103], v[24:25], s[28:29] op_sel_hi:[1,0]
	v_pk_fma_f32 v[86:87], v[26:27], s[6:7], v[84:85] op_sel:[0,0,1] op_sel_hi:[1,0,0]
	v_pk_fma_f32 v[84:85], v[26:27], s[6:7], v[84:85] op_sel:[0,0,1] op_sel_hi:[1,0,0] neg_lo:[0,0,1] neg_hi:[0,0,1]
	v_mov_b32_e32 v88, v86
	v_mov_b32_e32 v89, v85
	v_pk_add_f32 v[78:79], v[88:89], v[78:79]
	v_pk_mul_f32 v[88:89], v[34:35], s[20:21] op_sel_hi:[1,0]
	v_pk_fma_f32 v[104:105], v[22:23], s[12:13], v[102:103] op_sel:[0,0,1] op_sel_hi:[1,0,0]
	v_pk_fma_f32 v[90:91], v[32:33], s[10:11], v[88:89] op_sel:[0,0,1] op_sel_hi:[1,0,0]
	v_pk_fma_f32 v[88:89], v[32:33], s[10:11], v[88:89] op_sel:[0,0,1] op_sel_hi:[1,0,0] neg_lo:[0,0,1] neg_hi:[0,0,1]
	v_mov_b32_e32 v92, v90
	v_mov_b32_e32 v93, v89
	v_pk_add_f32 v[78:79], v[92:93], v[78:79]
	v_pk_mul_f32 v[92:93], v[38:39], s[18:19] op_sel_hi:[1,0]
	v_pk_fma_f32 v[102:103], v[22:23], s[12:13], v[102:103] op_sel:[0,0,1] op_sel_hi:[1,0,0] neg_lo:[0,0,1] neg_hi:[0,0,1]
	v_pk_fma_f32 v[94:95], v[36:37], s[16:17], v[92:93] op_sel:[0,0,1] op_sel_hi:[1,0,0]
	v_pk_fma_f32 v[92:93], v[36:37], s[16:17], v[92:93] op_sel:[0,0,1] op_sel_hi:[1,0,0] neg_lo:[0,0,1] neg_hi:[0,0,1]
	v_mov_b32_e32 v96, v94
	v_mov_b32_e32 v97, v93
	v_pk_add_f32 v[78:79], v[96:97], v[78:79]
	v_pk_mul_f32 v[96:97], v[20:21], s[18:19] op_sel_hi:[1,0]
	v_mov_b32_e32 v106, v104
	v_pk_fma_f32 v[98:99], v[0:1], s[16:17], v[96:97] op_sel:[0,0,1] op_sel_hi:[1,0,0]
	v_pk_fma_f32 v[96:97], v[0:1], s[16:17], v[96:97] op_sel:[0,0,1] op_sel_hi:[1,0,0] neg_lo:[0,0,1] neg_hi:[0,0,1]
	v_mov_b32_e32 v100, v98
	v_mov_b32_e32 v101, v97
	v_pk_add_f32 v[100:101], v[30:31], v[100:101]
	v_mov_b32_e32 v107, v103
	v_pk_add_f32 v[100:101], v[106:107], v[100:101]
	v_pk_mul_f32 v[106:107], v[28:29], s[20:21] op_sel_hi:[1,0]
	v_pk_mul_f32 v[20:21], v[20:21], s[24:25] op_sel_hi:[1,0]
	v_pk_fma_f32 v[108:109], v[26:27], s[10:11], v[106:107] op_sel:[0,0,1] op_sel_hi:[1,0,0]
	v_pk_fma_f32 v[106:107], v[26:27], s[10:11], v[106:107] op_sel:[0,0,1] op_sel_hi:[1,0,0] neg_lo:[0,0,1] neg_hi:[0,0,1]
	v_mov_b32_e32 v110, v108
	v_mov_b32_e32 v111, v107
	v_pk_add_f32 v[100:101], v[110:111], v[100:101]
	v_pk_mul_f32 v[110:111], v[34:35], s[24:25] op_sel_hi:[1,0]
	v_pk_mul_f32 v[24:25], v[24:25], s[30:31] op_sel_hi:[1,0]
	v_pk_fma_f32 v[112:113], v[32:33], s[22:23], v[110:111] op_sel:[0,0,1] op_sel_hi:[1,0,0]
	v_pk_fma_f32 v[110:111], v[32:33], s[22:23], v[110:111] op_sel:[0,0,1] op_sel_hi:[1,0,0] neg_lo:[0,0,1] neg_hi:[0,0,1]
	v_mov_b32_e32 v114, v112
	v_mov_b32_e32 v115, v111
	v_pk_add_f32 v[100:101], v[114:115], v[100:101]
	v_pk_mul_f32 v[114:115], v[38:39], s[26:27] op_sel_hi:[1,0]
	v_mov_b32_e32 v97, v99
	v_pk_fma_f32 v[116:117], v[36:37], s[6:7], v[114:115] op_sel:[0,0,1] op_sel_hi:[1,0,0]
	v_pk_fma_f32 v[114:115], v[36:37], s[6:7], v[114:115] op_sel:[0,0,1] op_sel_hi:[1,0,0] neg_lo:[0,0,1] neg_hi:[0,0,1]
	v_mov_b32_e32 v118, v116
	v_mov_b32_e32 v119, v115
	v_pk_add_f32 v[100:101], v[118:119], v[100:101]
	ds_write2_b64 v120, v[78:79], v[100:101] offset0:15 offset1:20
	v_pk_fma_f32 v[78:79], v[0:1], s[22:23], v[20:21] op_sel:[0,0,1] op_sel_hi:[1,0,0]
	v_pk_fma_f32 v[0:1], v[0:1], s[22:23], v[20:21] op_sel:[0,0,1] op_sel_hi:[1,0,0] neg_lo:[0,0,1] neg_hi:[0,0,1]
	v_mov_b32_e32 v20, v78
	v_mov_b32_e32 v21, v1
	v_pk_fma_f32 v[100:101], v[22:23], s[10:11], v[24:25] op_sel:[0,0,1] op_sel_hi:[1,0,0]
	v_pk_fma_f32 v[22:23], v[22:23], s[10:11], v[24:25] op_sel:[0,0,1] op_sel_hi:[1,0,0] neg_lo:[0,0,1] neg_hi:[0,0,1]
	v_pk_add_f32 v[20:21], v[30:31], v[20:21]
	v_mov_b32_e32 v24, v100
	v_mov_b32_e32 v25, v23
	v_pk_add_f32 v[20:21], v[24:25], v[20:21]
	v_pk_mul_f32 v[24:25], v[28:29], s[18:19] op_sel_hi:[1,0]
	v_mov_b32_e32 v1, v79
	v_pk_fma_f32 v[28:29], v[26:27], s[16:17], v[24:25] op_sel:[0,0,1] op_sel_hi:[1,0,0]
	v_pk_fma_f32 v[24:25], v[26:27], s[16:17], v[24:25] op_sel:[0,0,1] op_sel_hi:[1,0,0] neg_lo:[0,0,1] neg_hi:[0,0,1]
	v_mov_b32_e32 v26, v28
	v_mov_b32_e32 v27, v25
	v_pk_add_f32 v[20:21], v[26:27], v[20:21]
	v_pk_mul_f32 v[26:27], v[34:35], s[26:27] op_sel_hi:[1,0]
	v_pk_add_f32 v[0:1], v[30:31], v[0:1]
	v_pk_fma_f32 v[34:35], v[32:33], s[6:7], v[26:27] op_sel:[0,0,1] op_sel_hi:[1,0,0]
	v_pk_fma_f32 v[26:27], v[32:33], s[6:7], v[26:27] op_sel:[0,0,1] op_sel_hi:[1,0,0] neg_lo:[0,0,1] neg_hi:[0,0,1]
	v_mov_b32_e32 v32, v34
	v_mov_b32_e32 v33, v27
	;; [unrolled: 1-line block ×3, first 2 shown]
	v_pk_add_f32 v[20:21], v[32:33], v[20:21]
	v_pk_mul_f32 v[32:33], v[38:39], s[14:15] op_sel_hi:[1,0]
	v_pk_add_f32 v[0:1], v[22:23], v[0:1]
	v_mov_b32_e32 v25, v29
	v_pk_fma_f32 v[38:39], v[36:37], s[12:13], v[32:33] op_sel:[0,0,1] op_sel_hi:[1,0,0]
	v_pk_fma_f32 v[32:33], v[36:37], s[12:13], v[32:33] op_sel:[0,0,1] op_sel_hi:[1,0,0] neg_lo:[0,0,1] neg_hi:[0,0,1]
	v_pk_add_f32 v[0:1], v[24:25], v[0:1]
	v_mov_b32_e32 v27, v35
	v_mov_b32_e32 v36, v38
	;; [unrolled: 1-line block ×3, first 2 shown]
	v_pk_add_f32 v[0:1], v[26:27], v[0:1]
	v_mov_b32_e32 v33, v39
	v_pk_add_f32 v[20:21], v[36:37], v[20:21]
	v_pk_add_f32 v[0:1], v[32:33], v[0:1]
	v_mov_b32_e32 v7, v57
	ds_write2_b64 v120, v[20:21], v[0:1] offset0:25 offset1:30
	v_pk_add_f32 v[0:1], v[30:31], v[96:97]
	v_mov_b32_e32 v103, v105
	v_pk_add_f32 v[6:7], v[30:31], v[6:7]
	v_mov_b32_e32 v81, v83
	;; [unrolled: 2-line block ×8, first 2 shown]
	v_pk_add_f32 v[0:1], v[114:115], v[0:1]
	v_pk_add_f32 v[6:7], v[92:93], v[6:7]
	v_mov_b32_e32 v3, v5
	v_mov_b32_e32 v41, v55
	ds_write2_b64 v120, v[0:1], v[6:7] offset0:35 offset1:40
	v_pk_add_f32 v[0:1], v[30:31], v[2:3]
	v_mov_b32_e32 v9, v11
	v_pk_add_f32 v[2:3], v[30:31], v[40:41]
	v_mov_b32_e32 v59, v61
	;; [unrolled: 2-line block ×8, first 2 shown]
	v_pk_add_f32 v[0:1], v[74:75], v[0:1]
	v_pk_add_f32 v[2:3], v[70:71], v[2:3]
	ds_write2_b64 v120, v[0:1], v[2:3] offset0:45 offset1:50
.LBB0_9:
	s_or_b64 exec, exec, s[4:5]
	s_waitcnt lgkmcnt(0)
	s_barrier
	ds_read2_b64 v[0:3], v150 offset1:11
	v_mad_u64_u32 v[6:7], s[4:5], s2, v42, 0
	v_mov_b32_e32 v8, v7
	v_mad_u64_u32 v[8:9], s[2:3], s3, v42, v[8:9]
	v_mov_b32_e32 v7, v8
	s_waitcnt lgkmcnt(0)
	v_mul_f32_e32 v8, v53, v1
	v_fmac_f32_e32 v8, v52, v0
	v_mul_f32_e32 v0, v53, v0
	s_mov_b32 s2, 0x29e4129e
	v_fma_f32 v0, v52, v1, -v0
	v_cvt_f64_f32_e32 v[8:9], v8
	s_mov_b32 s3, 0x3f929e41
	v_cvt_f64_f32_e32 v[0:1], v0
	v_mul_f64 v[8:9], v[8:9], s[2:3]
	v_mul_f64 v[0:1], v[0:1], s[2:3]
	v_cvt_f32_f64_e32 v8, v[8:9]
	v_cvt_f32_f64_e32 v9, v[0:1]
	v_mad_u64_u32 v[0:1], s[4:5], s0, v43, 0
	v_mov_b32_e32 v10, v1
	v_mov_b32_e32 v4, s8
	;; [unrolled: 1-line block ×3, first 2 shown]
	v_mad_u64_u32 v[10:11], s[4:5], s1, v43, v[10:11]
	v_mov_b32_e32 v1, v10
	v_lshl_add_u64 v[4:5], v[6:7], 3, v[4:5]
	v_lshl_add_u64 v[4:5], v[0:1], 3, v[4:5]
	v_mul_f32_e32 v0, v51, v3
	v_fmac_f32_e32 v0, v50, v2
	v_cvt_f64_f32_e32 v[0:1], v0
	v_mul_f64 v[0:1], v[0:1], s[2:3]
	v_cvt_f32_f64_e32 v6, v[0:1]
	v_mul_f32_e32 v0, v51, v2
	v_fma_f32 v0, v50, v3, -v0
	v_cvt_f64_f32_e32 v[0:1], v0
	v_mul_f64 v[0:1], v[0:1], s[2:3]
	v_cvt_f32_f64_e32 v7, v[0:1]
	ds_read2_b64 v[0:3], v150 offset0:22 offset1:33
	global_store_dwordx2 v[4:5], v[8:9], off
	v_mov_b32_e32 v8, 0x58
	v_mad_u64_u32 v[4:5], s[4:5], s0, v8, v[4:5]
	s_mul_i32 s6, s1, 0x58
	v_add_u32_e32 v5, s6, v5
	global_store_dwordx2 v[4:5], v[6:7], off
	s_waitcnt lgkmcnt(0)
	v_mul_f32_e32 v6, v49, v1
	v_fmac_f32_e32 v6, v48, v0
	v_mul_f32_e32 v0, v49, v0
	v_fma_f32 v0, v48, v1, -v0
	v_cvt_f64_f32_e32 v[6:7], v6
	v_cvt_f64_f32_e32 v[0:1], v0
	v_mul_f64 v[6:7], v[6:7], s[2:3]
	v_mul_f64 v[0:1], v[0:1], s[2:3]
	v_cvt_f32_f64_e32 v6, v[6:7]
	v_cvt_f32_f64_e32 v7, v[0:1]
	v_mad_u64_u32 v[0:1], s[4:5], s0, v8, v[4:5]
	v_mul_f32_e32 v4, v47, v3
	v_fmac_f32_e32 v4, v46, v2
	v_mul_f32_e32 v2, v47, v2
	v_fma_f32 v2, v46, v3, -v2
	v_cvt_f64_f32_e32 v[4:5], v4
	v_cvt_f64_f32_e32 v[2:3], v2
	v_mul_f64 v[4:5], v[4:5], s[2:3]
	v_mul_f64 v[2:3], v[2:3], s[2:3]
	v_cvt_f32_f64_e32 v4, v[4:5]
	v_cvt_f32_f64_e32 v5, v[2:3]
	ds_read_b64 v[2:3], v150 offset:352
	v_add_u32_e32 v1, s6, v1
	global_store_dwordx2 v[0:1], v[6:7], off
	v_mad_u64_u32 v[0:1], s[4:5], s0, v8, v[0:1]
	v_add_u32_e32 v1, s6, v1
	global_store_dwordx2 v[0:1], v[4:5], off
	s_waitcnt lgkmcnt(0)
	v_mul_f32_e32 v4, v45, v3
	v_fmac_f32_e32 v4, v44, v2
	v_mul_f32_e32 v2, v45, v2
	v_fma_f32 v2, v44, v3, -v2
	v_cvt_f64_f32_e32 v[4:5], v4
	v_cvt_f64_f32_e32 v[2:3], v2
	v_mul_f64 v[4:5], v[4:5], s[2:3]
	v_mul_f64 v[2:3], v[2:3], s[2:3]
	v_mad_u64_u32 v[0:1], s[0:1], s0, v8, v[0:1]
	v_cvt_f32_f64_e32 v4, v[4:5]
	v_cvt_f32_f64_e32 v5, v[2:3]
	v_add_u32_e32 v1, s6, v1
	global_store_dwordx2 v[0:1], v[4:5], off
.LBB0_10:
	s_endpgm
	.section	.rodata,"a",@progbits
	.p2align	6, 0x0
	.amdhsa_kernel bluestein_single_back_len55_dim1_sp_op_CI_CI
		.amdhsa_group_segment_fixed_size 10120
		.amdhsa_private_segment_fixed_size 0
		.amdhsa_kernarg_size 104
		.amdhsa_user_sgpr_count 2
		.amdhsa_user_sgpr_dispatch_ptr 0
		.amdhsa_user_sgpr_queue_ptr 0
		.amdhsa_user_sgpr_kernarg_segment_ptr 1
		.amdhsa_user_sgpr_dispatch_id 0
		.amdhsa_user_sgpr_kernarg_preload_length 0
		.amdhsa_user_sgpr_kernarg_preload_offset 0
		.amdhsa_user_sgpr_private_segment_size 0
		.amdhsa_uses_dynamic_stack 0
		.amdhsa_enable_private_segment 0
		.amdhsa_system_sgpr_workgroup_id_x 1
		.amdhsa_system_sgpr_workgroup_id_y 0
		.amdhsa_system_sgpr_workgroup_id_z 0
		.amdhsa_system_sgpr_workgroup_info 0
		.amdhsa_system_vgpr_workitem_id 0
		.amdhsa_next_free_vgpr 174
		.amdhsa_next_free_sgpr 36
		.amdhsa_accum_offset 176
		.amdhsa_reserve_vcc 1
		.amdhsa_float_round_mode_32 0
		.amdhsa_float_round_mode_16_64 0
		.amdhsa_float_denorm_mode_32 3
		.amdhsa_float_denorm_mode_16_64 3
		.amdhsa_dx10_clamp 1
		.amdhsa_ieee_mode 1
		.amdhsa_fp16_overflow 0
		.amdhsa_tg_split 0
		.amdhsa_exception_fp_ieee_invalid_op 0
		.amdhsa_exception_fp_denorm_src 0
		.amdhsa_exception_fp_ieee_div_zero 0
		.amdhsa_exception_fp_ieee_overflow 0
		.amdhsa_exception_fp_ieee_underflow 0
		.amdhsa_exception_fp_ieee_inexact 0
		.amdhsa_exception_int_div_zero 0
	.end_amdhsa_kernel
	.text
.Lfunc_end0:
	.size	bluestein_single_back_len55_dim1_sp_op_CI_CI, .Lfunc_end0-bluestein_single_back_len55_dim1_sp_op_CI_CI
                                        ; -- End function
	.section	.AMDGPU.csdata,"",@progbits
; Kernel info:
; codeLenInByte = 6116
; NumSgprs: 42
; NumVgprs: 174
; NumAgprs: 0
; TotalNumVgprs: 174
; ScratchSize: 0
; MemoryBound: 0
; FloatMode: 240
; IeeeMode: 1
; LDSByteSize: 10120 bytes/workgroup (compile time only)
; SGPRBlocks: 5
; VGPRBlocks: 21
; NumSGPRsForWavesPerEU: 42
; NumVGPRsForWavesPerEU: 174
; AccumOffset: 176
; Occupancy: 2
; WaveLimiterHint : 1
; COMPUTE_PGM_RSRC2:SCRATCH_EN: 0
; COMPUTE_PGM_RSRC2:USER_SGPR: 2
; COMPUTE_PGM_RSRC2:TRAP_HANDLER: 0
; COMPUTE_PGM_RSRC2:TGID_X_EN: 1
; COMPUTE_PGM_RSRC2:TGID_Y_EN: 0
; COMPUTE_PGM_RSRC2:TGID_Z_EN: 0
; COMPUTE_PGM_RSRC2:TIDIG_COMP_CNT: 0
; COMPUTE_PGM_RSRC3_GFX90A:ACCUM_OFFSET: 43
; COMPUTE_PGM_RSRC3_GFX90A:TG_SPLIT: 0
	.text
	.p2alignl 6, 3212836864
	.fill 256, 4, 3212836864
	.type	__hip_cuid_c8f0140af233db6b,@object ; @__hip_cuid_c8f0140af233db6b
	.section	.bss,"aw",@nobits
	.globl	__hip_cuid_c8f0140af233db6b
__hip_cuid_c8f0140af233db6b:
	.byte	0                               ; 0x0
	.size	__hip_cuid_c8f0140af233db6b, 1

	.ident	"AMD clang version 19.0.0git (https://github.com/RadeonOpenCompute/llvm-project roc-6.4.0 25133 c7fe45cf4b819c5991fe208aaa96edf142730f1d)"
	.section	".note.GNU-stack","",@progbits
	.addrsig
	.addrsig_sym __hip_cuid_c8f0140af233db6b
	.amdgpu_metadata
---
amdhsa.kernels:
  - .agpr_count:     0
    .args:
      - .actual_access:  read_only
        .address_space:  global
        .offset:         0
        .size:           8
        .value_kind:     global_buffer
      - .actual_access:  read_only
        .address_space:  global
        .offset:         8
        .size:           8
        .value_kind:     global_buffer
      - .actual_access:  read_only
        .address_space:  global
        .offset:         16
        .size:           8
        .value_kind:     global_buffer
      - .actual_access:  read_only
        .address_space:  global
        .offset:         24
        .size:           8
        .value_kind:     global_buffer
      - .actual_access:  read_only
        .address_space:  global
        .offset:         32
        .size:           8
        .value_kind:     global_buffer
      - .offset:         40
        .size:           8
        .value_kind:     by_value
      - .address_space:  global
        .offset:         48
        .size:           8
        .value_kind:     global_buffer
      - .address_space:  global
        .offset:         56
        .size:           8
        .value_kind:     global_buffer
      - .address_space:  global
        .offset:         64
        .size:           8
        .value_kind:     global_buffer
      - .address_space:  global
        .offset:         72
        .size:           8
        .value_kind:     global_buffer
      - .offset:         80
        .size:           4
        .value_kind:     by_value
      - .address_space:  global
        .offset:         88
        .size:           8
        .value_kind:     global_buffer
      - .address_space:  global
        .offset:         96
        .size:           8
        .value_kind:     global_buffer
    .group_segment_fixed_size: 10120
    .kernarg_segment_align: 8
    .kernarg_segment_size: 104
    .language:       OpenCL C
    .language_version:
      - 2
      - 0
    .max_flat_workgroup_size: 253
    .name:           bluestein_single_back_len55_dim1_sp_op_CI_CI
    .private_segment_fixed_size: 0
    .sgpr_count:     42
    .sgpr_spill_count: 0
    .symbol:         bluestein_single_back_len55_dim1_sp_op_CI_CI.kd
    .uniform_work_group_size: 1
    .uses_dynamic_stack: false
    .vgpr_count:     174
    .vgpr_spill_count: 0
    .wavefront_size: 64
amdhsa.target:   amdgcn-amd-amdhsa--gfx950
amdhsa.version:
  - 1
  - 2
...

	.end_amdgpu_metadata
